;; amdgpu-corpus repo=ROCm/rocFFT kind=compiled arch=gfx1201 opt=O3
	.text
	.amdgcn_target "amdgcn-amd-amdhsa--gfx1201"
	.amdhsa_code_object_version 6
	.protected	fft_rtc_fwd_len1800_factors_10_6_10_3_wgs_180_tpt_180_halfLds_dp_ip_CI_unitstride_sbrr_C2R_dirReg ; -- Begin function fft_rtc_fwd_len1800_factors_10_6_10_3_wgs_180_tpt_180_halfLds_dp_ip_CI_unitstride_sbrr_C2R_dirReg
	.globl	fft_rtc_fwd_len1800_factors_10_6_10_3_wgs_180_tpt_180_halfLds_dp_ip_CI_unitstride_sbrr_C2R_dirReg
	.p2align	8
	.type	fft_rtc_fwd_len1800_factors_10_6_10_3_wgs_180_tpt_180_halfLds_dp_ip_CI_unitstride_sbrr_C2R_dirReg,@function
fft_rtc_fwd_len1800_factors_10_6_10_3_wgs_180_tpt_180_halfLds_dp_ip_CI_unitstride_sbrr_C2R_dirReg: ; @fft_rtc_fwd_len1800_factors_10_6_10_3_wgs_180_tpt_180_halfLds_dp_ip_CI_unitstride_sbrr_C2R_dirReg
; %bb.0:
	s_clause 0x2
	s_load_b128 s[4:7], s[0:1], 0x0
	s_load_b64 s[8:9], s[0:1], 0x50
	s_load_b64 s[10:11], s[0:1], 0x18
	v_mul_u32_u24_e32 v1, 0x16d, v0
	v_mov_b32_e32 v3, 0
	s_delay_alu instid0(VALU_DEP_2) | instskip(NEXT) | instid1(VALU_DEP_1)
	v_lshrrev_b32_e32 v1, 16, v1
	v_add_nc_u32_e32 v5, ttmp9, v1
	v_mov_b32_e32 v1, 0
	v_mov_b32_e32 v2, 0
	;; [unrolled: 1-line block ×3, first 2 shown]
	s_wait_kmcnt 0x0
	v_cmp_lt_u64_e64 s2, s[6:7], 2
	s_delay_alu instid0(VALU_DEP_1)
	s_and_b32 vcc_lo, exec_lo, s2
	s_cbranch_vccnz .LBB0_8
; %bb.1:
	s_load_b64 s[2:3], s[0:1], 0x10
	v_mov_b32_e32 v1, 0
	v_mov_b32_e32 v2, 0
	s_add_nc_u64 s[12:13], s[10:11], 8
	s_mov_b64 s[14:15], 1
	s_wait_kmcnt 0x0
	s_add_nc_u64 s[16:17], s[2:3], 8
	s_mov_b32 s3, 0
.LBB0_2:                                ; =>This Inner Loop Header: Depth=1
	s_load_b64 s[18:19], s[16:17], 0x0
                                        ; implicit-def: $vgpr7_vgpr8
	s_mov_b32 s2, exec_lo
	s_wait_kmcnt 0x0
	v_or_b32_e32 v4, s19, v6
	s_delay_alu instid0(VALU_DEP_1)
	v_cmpx_ne_u64_e32 0, v[3:4]
	s_wait_alu 0xfffe
	s_xor_b32 s20, exec_lo, s2
	s_cbranch_execz .LBB0_4
; %bb.3:                                ;   in Loop: Header=BB0_2 Depth=1
	s_cvt_f32_u32 s2, s18
	s_cvt_f32_u32 s21, s19
	s_sub_nc_u64 s[24:25], 0, s[18:19]
	s_wait_alu 0xfffe
	s_delay_alu instid0(SALU_CYCLE_1) | instskip(SKIP_1) | instid1(SALU_CYCLE_2)
	s_fmamk_f32 s2, s21, 0x4f800000, s2
	s_wait_alu 0xfffe
	v_s_rcp_f32 s2, s2
	s_delay_alu instid0(TRANS32_DEP_1) | instskip(SKIP_1) | instid1(SALU_CYCLE_2)
	s_mul_f32 s2, s2, 0x5f7ffffc
	s_wait_alu 0xfffe
	s_mul_f32 s21, s2, 0x2f800000
	s_wait_alu 0xfffe
	s_delay_alu instid0(SALU_CYCLE_2) | instskip(SKIP_1) | instid1(SALU_CYCLE_2)
	s_trunc_f32 s21, s21
	s_wait_alu 0xfffe
	s_fmamk_f32 s2, s21, 0xcf800000, s2
	s_cvt_u32_f32 s23, s21
	s_wait_alu 0xfffe
	s_delay_alu instid0(SALU_CYCLE_1) | instskip(SKIP_1) | instid1(SALU_CYCLE_2)
	s_cvt_u32_f32 s22, s2
	s_wait_alu 0xfffe
	s_mul_u64 s[26:27], s[24:25], s[22:23]
	s_wait_alu 0xfffe
	s_mul_hi_u32 s29, s22, s27
	s_mul_i32 s28, s22, s27
	s_mul_hi_u32 s2, s22, s26
	s_mul_i32 s30, s23, s26
	s_wait_alu 0xfffe
	s_add_nc_u64 s[28:29], s[2:3], s[28:29]
	s_mul_hi_u32 s21, s23, s26
	s_mul_hi_u32 s31, s23, s27
	s_add_co_u32 s2, s28, s30
	s_wait_alu 0xfffe
	s_add_co_ci_u32 s2, s29, s21
	s_mul_i32 s26, s23, s27
	s_add_co_ci_u32 s27, s31, 0
	s_wait_alu 0xfffe
	s_add_nc_u64 s[26:27], s[2:3], s[26:27]
	s_wait_alu 0xfffe
	v_add_co_u32 v4, s2, s22, s26
	s_delay_alu instid0(VALU_DEP_1) | instskip(SKIP_1) | instid1(VALU_DEP_1)
	s_cmp_lg_u32 s2, 0
	s_add_co_ci_u32 s23, s23, s27
	v_readfirstlane_b32 s22, v4
	s_wait_alu 0xfffe
	s_delay_alu instid0(VALU_DEP_1)
	s_mul_u64 s[24:25], s[24:25], s[22:23]
	s_wait_alu 0xfffe
	s_mul_hi_u32 s27, s22, s25
	s_mul_i32 s26, s22, s25
	s_mul_hi_u32 s2, s22, s24
	s_mul_i32 s28, s23, s24
	s_wait_alu 0xfffe
	s_add_nc_u64 s[26:27], s[2:3], s[26:27]
	s_mul_hi_u32 s21, s23, s24
	s_mul_hi_u32 s22, s23, s25
	s_wait_alu 0xfffe
	s_add_co_u32 s2, s26, s28
	s_add_co_ci_u32 s2, s27, s21
	s_mul_i32 s24, s23, s25
	s_add_co_ci_u32 s25, s22, 0
	s_wait_alu 0xfffe
	s_add_nc_u64 s[24:25], s[2:3], s[24:25]
	s_wait_alu 0xfffe
	v_add_co_u32 v4, s2, v4, s24
	s_delay_alu instid0(VALU_DEP_1) | instskip(SKIP_1) | instid1(VALU_DEP_1)
	s_cmp_lg_u32 s2, 0
	s_add_co_ci_u32 s2, s23, s25
	v_mul_hi_u32 v13, v5, v4
	s_wait_alu 0xfffe
	v_mad_co_u64_u32 v[7:8], null, v5, s2, 0
	v_mad_co_u64_u32 v[9:10], null, v6, v4, 0
	;; [unrolled: 1-line block ×3, first 2 shown]
	s_delay_alu instid0(VALU_DEP_3) | instskip(SKIP_1) | instid1(VALU_DEP_4)
	v_add_co_u32 v4, vcc_lo, v13, v7
	s_wait_alu 0xfffd
	v_add_co_ci_u32_e32 v7, vcc_lo, 0, v8, vcc_lo
	s_delay_alu instid0(VALU_DEP_2) | instskip(SKIP_1) | instid1(VALU_DEP_2)
	v_add_co_u32 v4, vcc_lo, v4, v9
	s_wait_alu 0xfffd
	v_add_co_ci_u32_e32 v4, vcc_lo, v7, v10, vcc_lo
	s_wait_alu 0xfffd
	v_add_co_ci_u32_e32 v7, vcc_lo, 0, v12, vcc_lo
	s_delay_alu instid0(VALU_DEP_2) | instskip(SKIP_1) | instid1(VALU_DEP_2)
	v_add_co_u32 v4, vcc_lo, v4, v11
	s_wait_alu 0xfffd
	v_add_co_ci_u32_e32 v9, vcc_lo, 0, v7, vcc_lo
	s_delay_alu instid0(VALU_DEP_2) | instskip(SKIP_1) | instid1(VALU_DEP_3)
	v_mul_lo_u32 v10, s19, v4
	v_mad_co_u64_u32 v[7:8], null, s18, v4, 0
	v_mul_lo_u32 v11, s18, v9
	s_delay_alu instid0(VALU_DEP_2) | instskip(NEXT) | instid1(VALU_DEP_2)
	v_sub_co_u32 v7, vcc_lo, v5, v7
	v_add3_u32 v8, v8, v11, v10
	s_delay_alu instid0(VALU_DEP_1) | instskip(SKIP_1) | instid1(VALU_DEP_1)
	v_sub_nc_u32_e32 v10, v6, v8
	s_wait_alu 0xfffd
	v_subrev_co_ci_u32_e64 v10, s2, s19, v10, vcc_lo
	v_add_co_u32 v11, s2, v4, 2
	s_wait_alu 0xf1ff
	v_add_co_ci_u32_e64 v12, s2, 0, v9, s2
	v_sub_co_u32 v13, s2, v7, s18
	v_sub_co_ci_u32_e32 v8, vcc_lo, v6, v8, vcc_lo
	s_wait_alu 0xf1ff
	v_subrev_co_ci_u32_e64 v10, s2, 0, v10, s2
	s_delay_alu instid0(VALU_DEP_3) | instskip(NEXT) | instid1(VALU_DEP_3)
	v_cmp_le_u32_e32 vcc_lo, s18, v13
	v_cmp_eq_u32_e64 s2, s19, v8
	s_wait_alu 0xfffd
	v_cndmask_b32_e64 v13, 0, -1, vcc_lo
	v_cmp_le_u32_e32 vcc_lo, s19, v10
	s_wait_alu 0xfffd
	v_cndmask_b32_e64 v14, 0, -1, vcc_lo
	v_cmp_le_u32_e32 vcc_lo, s18, v7
	;; [unrolled: 3-line block ×3, first 2 shown]
	s_wait_alu 0xfffd
	v_cndmask_b32_e64 v15, 0, -1, vcc_lo
	v_cmp_eq_u32_e32 vcc_lo, s19, v10
	s_wait_alu 0xf1ff
	s_delay_alu instid0(VALU_DEP_2)
	v_cndmask_b32_e64 v7, v15, v7, s2
	s_wait_alu 0xfffd
	v_cndmask_b32_e32 v10, v14, v13, vcc_lo
	v_add_co_u32 v13, vcc_lo, v4, 1
	s_wait_alu 0xfffd
	v_add_co_ci_u32_e32 v14, vcc_lo, 0, v9, vcc_lo
	s_delay_alu instid0(VALU_DEP_3) | instskip(SKIP_2) | instid1(VALU_DEP_3)
	v_cmp_ne_u32_e32 vcc_lo, 0, v10
	s_wait_alu 0xfffd
	v_cndmask_b32_e32 v10, v13, v11, vcc_lo
	v_cndmask_b32_e32 v8, v14, v12, vcc_lo
	v_cmp_ne_u32_e32 vcc_lo, 0, v7
	s_wait_alu 0xfffd
	s_delay_alu instid0(VALU_DEP_2)
	v_dual_cndmask_b32 v7, v4, v10 :: v_dual_cndmask_b32 v8, v9, v8
.LBB0_4:                                ;   in Loop: Header=BB0_2 Depth=1
	s_wait_alu 0xfffe
	s_and_not1_saveexec_b32 s2, s20
	s_cbranch_execz .LBB0_6
; %bb.5:                                ;   in Loop: Header=BB0_2 Depth=1
	v_cvt_f32_u32_e32 v4, s18
	s_sub_co_i32 s20, 0, s18
	s_delay_alu instid0(VALU_DEP_1) | instskip(NEXT) | instid1(TRANS32_DEP_1)
	v_rcp_iflag_f32_e32 v4, v4
	v_mul_f32_e32 v4, 0x4f7ffffe, v4
	s_delay_alu instid0(VALU_DEP_1) | instskip(SKIP_1) | instid1(VALU_DEP_1)
	v_cvt_u32_f32_e32 v4, v4
	s_wait_alu 0xfffe
	v_mul_lo_u32 v7, s20, v4
	s_delay_alu instid0(VALU_DEP_1) | instskip(NEXT) | instid1(VALU_DEP_1)
	v_mul_hi_u32 v7, v4, v7
	v_add_nc_u32_e32 v4, v4, v7
	s_delay_alu instid0(VALU_DEP_1) | instskip(NEXT) | instid1(VALU_DEP_1)
	v_mul_hi_u32 v4, v5, v4
	v_mul_lo_u32 v7, v4, s18
	v_add_nc_u32_e32 v8, 1, v4
	s_delay_alu instid0(VALU_DEP_2) | instskip(NEXT) | instid1(VALU_DEP_1)
	v_sub_nc_u32_e32 v7, v5, v7
	v_subrev_nc_u32_e32 v9, s18, v7
	v_cmp_le_u32_e32 vcc_lo, s18, v7
	s_wait_alu 0xfffd
	s_delay_alu instid0(VALU_DEP_2) | instskip(NEXT) | instid1(VALU_DEP_1)
	v_dual_cndmask_b32 v7, v7, v9 :: v_dual_cndmask_b32 v4, v4, v8
	v_cmp_le_u32_e32 vcc_lo, s18, v7
	s_delay_alu instid0(VALU_DEP_2) | instskip(SKIP_1) | instid1(VALU_DEP_1)
	v_add_nc_u32_e32 v8, 1, v4
	s_wait_alu 0xfffd
	v_dual_cndmask_b32 v7, v4, v8 :: v_dual_mov_b32 v8, v3
.LBB0_6:                                ;   in Loop: Header=BB0_2 Depth=1
	s_wait_alu 0xfffe
	s_or_b32 exec_lo, exec_lo, s2
	s_load_b64 s[20:21], s[12:13], 0x0
	s_delay_alu instid0(VALU_DEP_1)
	v_mul_lo_u32 v4, v8, s18
	v_mul_lo_u32 v11, v7, s19
	v_mad_co_u64_u32 v[9:10], null, v7, s18, 0
	s_add_nc_u64 s[14:15], s[14:15], 1
	s_add_nc_u64 s[12:13], s[12:13], 8
	s_wait_alu 0xfffe
	v_cmp_ge_u64_e64 s2, s[14:15], s[6:7]
	s_add_nc_u64 s[16:17], s[16:17], 8
	s_delay_alu instid0(VALU_DEP_2) | instskip(NEXT) | instid1(VALU_DEP_3)
	v_add3_u32 v4, v10, v11, v4
	v_sub_co_u32 v5, vcc_lo, v5, v9
	s_wait_alu 0xfffd
	s_delay_alu instid0(VALU_DEP_2) | instskip(SKIP_3) | instid1(VALU_DEP_2)
	v_sub_co_ci_u32_e32 v4, vcc_lo, v6, v4, vcc_lo
	s_and_b32 vcc_lo, exec_lo, s2
	s_wait_kmcnt 0x0
	v_mul_lo_u32 v6, s21, v5
	v_mul_lo_u32 v4, s20, v4
	v_mad_co_u64_u32 v[1:2], null, s20, v5, v[1:2]
	s_delay_alu instid0(VALU_DEP_1)
	v_add3_u32 v2, v6, v2, v4
	s_wait_alu 0xfffe
	s_cbranch_vccnz .LBB0_9
; %bb.7:                                ;   in Loop: Header=BB0_2 Depth=1
	v_dual_mov_b32 v5, v7 :: v_dual_mov_b32 v6, v8
	s_branch .LBB0_2
.LBB0_8:
	v_dual_mov_b32 v8, v6 :: v_dual_mov_b32 v7, v5
.LBB0_9:
	s_lshl_b64 s[2:3], s[6:7], 3
	v_mul_hi_u32 v5, 0x16c16c2, v0
	s_wait_alu 0xfffe
	s_add_nc_u64 s[2:3], s[10:11], s[2:3]
	s_load_b64 s[2:3], s[2:3], 0x0
	s_load_b64 s[0:1], s[0:1], 0x20
	s_wait_kmcnt 0x0
	v_mul_lo_u32 v3, s2, v8
	v_mul_lo_u32 v4, s3, v7
	v_mad_co_u64_u32 v[1:2], null, s2, v7, v[1:2]
	v_cmp_gt_u64_e32 vcc_lo, s[0:1], v[7:8]
	s_delay_alu instid0(VALU_DEP_2) | instskip(SKIP_1) | instid1(VALU_DEP_2)
	v_add3_u32 v2, v4, v2, v3
	v_mul_u32_u24_e32 v3, 0xb4, v5
	v_lshlrev_b64_e32 v[50:51], 4, v[1:2]
	s_delay_alu instid0(VALU_DEP_2)
	v_sub_nc_u32_e32 v48, v0, v3
	s_and_saveexec_b32 s1, vcc_lo
	s_cbranch_execz .LBB0_13
; %bb.10:
	v_mov_b32_e32 v49, 0
	s_delay_alu instid0(VALU_DEP_3) | instskip(SKIP_2) | instid1(VALU_DEP_3)
	v_add_co_u32 v0, s0, s8, v50
	s_wait_alu 0xf1ff
	v_add_co_ci_u32_e64 v1, s0, s9, v51, s0
	v_lshlrev_b64_e32 v[2:3], 4, v[48:49]
	v_lshl_add_u32 v42, v48, 4, 0
	s_mov_b32 s2, exec_lo
	s_delay_alu instid0(VALU_DEP_2) | instskip(SKIP_1) | instid1(VALU_DEP_3)
	v_add_co_u32 v38, s0, v0, v2
	s_wait_alu 0xf1ff
	v_add_co_ci_u32_e64 v39, s0, v1, v3, s0
	s_clause 0x9
	global_load_b128 v[2:5], v[38:39], off
	global_load_b128 v[6:9], v[38:39], off offset:2880
	global_load_b128 v[10:13], v[38:39], off offset:5760
	;; [unrolled: 1-line block ×9, first 2 shown]
	s_wait_loadcnt 0x9
	ds_store_b128 v42, v[2:5]
	s_wait_loadcnt 0x8
	ds_store_b128 v42, v[6:9] offset:2880
	s_wait_loadcnt 0x7
	ds_store_b128 v42, v[10:13] offset:5760
	;; [unrolled: 2-line block ×9, first 2 shown]
	v_cmpx_eq_u32_e32 0xb3, v48
	s_cbranch_execz .LBB0_12
; %bb.11:
	global_load_b128 v[0:3], v[0:1], off offset:28800
	v_mov_b32_e32 v48, 0xb3
	s_wait_loadcnt 0x0
	ds_store_b128 v49, v[0:3] offset:28800
.LBB0_12:
	s_wait_alu 0xfffe
	s_or_b32 exec_lo, exec_lo, s2
.LBB0_13:
	s_wait_alu 0xfffe
	s_or_b32 exec_lo, exec_lo, s1
	v_lshlrev_b32_e32 v0, 4, v48
	global_wb scope:SCOPE_SE
	s_wait_dscnt 0x0
	s_barrier_signal -1
	s_barrier_wait -1
	global_inv scope:SCOPE_SE
	v_add_nc_u32_e32 v54, 0, v0
	v_sub_nc_u32_e32 v10, 0, v0
	s_mov_b32 s1, exec_lo
                                        ; implicit-def: $vgpr4_vgpr5
	ds_load_b64 v[6:7], v54
	ds_load_b64 v[8:9], v10 offset:28800
	s_wait_dscnt 0x0
	v_add_f64_e32 v[0:1], v[6:7], v[8:9]
	v_add_f64_e64 v[2:3], v[6:7], -v[8:9]
	v_cmpx_ne_u32_e32 0, v48
	s_wait_alu 0xfffe
	s_xor_b32 s1, exec_lo, s1
	s_cbranch_execz .LBB0_15
; %bb.14:
	v_mov_b32_e32 v49, 0
	v_add_f64_e32 v[13:14], v[6:7], v[8:9]
	v_add_f64_e64 v[15:16], v[6:7], -v[8:9]
	s_delay_alu instid0(VALU_DEP_3) | instskip(NEXT) | instid1(VALU_DEP_1)
	v_lshlrev_b64_e32 v[0:1], 4, v[48:49]
	v_add_co_u32 v0, s0, s4, v0
	s_wait_alu 0xf1ff
	s_delay_alu instid0(VALU_DEP_2)
	v_add_co_ci_u32_e64 v1, s0, s5, v1, s0
	global_load_b128 v[2:5], v[0:1], off offset:28640
	ds_load_b64 v[0:1], v10 offset:28808
	ds_load_b64 v[11:12], v54 offset:8
	s_wait_dscnt 0x0
	v_add_f64_e32 v[6:7], v[0:1], v[11:12]
	v_add_f64_e64 v[0:1], v[11:12], -v[0:1]
	s_wait_loadcnt 0x0
	v_fma_f64 v[8:9], v[15:16], v[4:5], v[13:14]
	v_fma_f64 v[11:12], -v[15:16], v[4:5], v[13:14]
	s_delay_alu instid0(VALU_DEP_3) | instskip(SKIP_1) | instid1(VALU_DEP_4)
	v_fma_f64 v[13:14], v[6:7], v[4:5], -v[0:1]
	v_fma_f64 v[4:5], v[6:7], v[4:5], v[0:1]
	v_fma_f64 v[0:1], -v[6:7], v[2:3], v[8:9]
	s_delay_alu instid0(VALU_DEP_4) | instskip(NEXT) | instid1(VALU_DEP_4)
	v_fma_f64 v[6:7], v[6:7], v[2:3], v[11:12]
	v_fma_f64 v[8:9], v[15:16], v[2:3], v[13:14]
	s_delay_alu instid0(VALU_DEP_4)
	v_fma_f64 v[2:3], v[15:16], v[2:3], v[4:5]
	v_dual_mov_b32 v4, v48 :: v_dual_mov_b32 v5, v49
	ds_store_b128 v10, v[6:9] offset:28800
.LBB0_15:
	s_wait_alu 0xfffe
	s_and_not1_saveexec_b32 s0, s1
	s_cbranch_execz .LBB0_17
; %bb.16:
	v_mov_b32_e32 v8, 0
	ds_load_b128 v[4:7], v8 offset:14400
	s_wait_dscnt 0x0
	v_add_f64_e32 v[11:12], v[4:5], v[4:5]
	v_mul_f64_e32 v[13:14], -2.0, v[6:7]
	v_mov_b32_e32 v4, 0
	v_mov_b32_e32 v5, 0
	ds_store_b128 v8, v[11:14] offset:14400
.LBB0_17:
	s_wait_alu 0xfffe
	s_or_b32 exec_lo, exec_lo, s0
	v_lshlrev_b64_e32 v[4:5], 4, v[4:5]
	s_add_nc_u64 s[0:1], s[4:5], 0x6fe0
	s_mov_b32 s2, 0x134454ff
	s_mov_b32 s3, 0x3fee6f0e
	;; [unrolled: 1-line block ×4, first 2 shown]
	s_wait_alu 0xfffe
	v_add_co_u32 v23, s0, s0, v4
	s_wait_alu 0xf1ff
	v_add_co_ci_u32_e64 v24, s0, s1, v5, s0
	s_mov_b32 s1, 0xbfee6f0e
	s_mov_b32 s0, s2
	;; [unrolled: 1-line block ×3, first 2 shown]
	s_clause 0x1
	global_load_b128 v[4:7], v[23:24], off offset:2880
	global_load_b128 v[11:14], v[23:24], off offset:5760
	ds_store_b128 v54, v[0:3]
	ds_load_b128 v[0:3], v54 offset:2880
	ds_load_b128 v[15:18], v10 offset:25920
	global_load_b128 v[19:22], v[23:24], off offset:8640
	s_mov_b32 s10, s6
	s_mov_b32 s12, 0x372fe950
	;; [unrolled: 1-line block ×5, first 2 shown]
	s_wait_dscnt 0x0
	v_add_f64_e32 v[8:9], v[0:1], v[15:16]
	v_add_f64_e32 v[25:26], v[17:18], v[2:3]
	v_add_f64_e64 v[15:16], v[0:1], -v[15:16]
	v_add_f64_e64 v[0:1], v[2:3], -v[17:18]
	s_wait_loadcnt 0x2
	s_delay_alu instid0(VALU_DEP_2) | instskip(NEXT) | instid1(VALU_DEP_2)
	v_fma_f64 v[2:3], v[15:16], v[6:7], v[8:9]
	v_fma_f64 v[17:18], v[25:26], v[6:7], v[0:1]
	v_fma_f64 v[8:9], -v[15:16], v[6:7], v[8:9]
	v_fma_f64 v[27:28], v[25:26], v[6:7], -v[0:1]
	s_delay_alu instid0(VALU_DEP_4) | instskip(NEXT) | instid1(VALU_DEP_4)
	v_fma_f64 v[0:1], -v[25:26], v[4:5], v[2:3]
	v_fma_f64 v[2:3], v[15:16], v[4:5], v[17:18]
	s_delay_alu instid0(VALU_DEP_4) | instskip(NEXT) | instid1(VALU_DEP_4)
	v_fma_f64 v[6:7], v[25:26], v[4:5], v[8:9]
	v_fma_f64 v[8:9], v[15:16], v[4:5], v[27:28]
	ds_store_b128 v54, v[0:3] offset:2880
	ds_store_b128 v10, v[6:9] offset:25920
	ds_load_b128 v[0:3], v54 offset:5760
	ds_load_b128 v[4:7], v10 offset:23040
	global_load_b128 v[15:18], v[23:24], off offset:11520
	s_wait_dscnt 0x0
	v_add_f64_e32 v[8:9], v[0:1], v[4:5]
	v_add_f64_e32 v[23:24], v[6:7], v[2:3]
	v_add_f64_e64 v[25:26], v[0:1], -v[4:5]
	v_add_f64_e64 v[0:1], v[2:3], -v[6:7]
	s_wait_loadcnt 0x2
	s_delay_alu instid0(VALU_DEP_2) | instskip(NEXT) | instid1(VALU_DEP_2)
	v_fma_f64 v[2:3], v[25:26], v[13:14], v[8:9]
	v_fma_f64 v[4:5], v[23:24], v[13:14], v[0:1]
	v_fma_f64 v[6:7], -v[25:26], v[13:14], v[8:9]
	v_fma_f64 v[8:9], v[23:24], v[13:14], -v[0:1]
	s_delay_alu instid0(VALU_DEP_4) | instskip(NEXT) | instid1(VALU_DEP_4)
	v_fma_f64 v[0:1], -v[23:24], v[11:12], v[2:3]
	v_fma_f64 v[2:3], v[25:26], v[11:12], v[4:5]
	s_delay_alu instid0(VALU_DEP_4) | instskip(NEXT) | instid1(VALU_DEP_4)
	v_fma_f64 v[4:5], v[23:24], v[11:12], v[6:7]
	v_fma_f64 v[6:7], v[25:26], v[11:12], v[8:9]
	ds_store_b128 v54, v[0:3] offset:5760
	ds_store_b128 v10, v[4:7] offset:23040
	ds_load_b128 v[0:3], v54 offset:8640
	ds_load_b128 v[4:7], v10 offset:20160
	s_wait_dscnt 0x0
	v_add_f64_e32 v[8:9], v[0:1], v[4:5]
	v_add_f64_e32 v[11:12], v[6:7], v[2:3]
	v_add_f64_e64 v[13:14], v[0:1], -v[4:5]
	v_add_f64_e64 v[0:1], v[2:3], -v[6:7]
	s_wait_loadcnt 0x1
	s_delay_alu instid0(VALU_DEP_2) | instskip(NEXT) | instid1(VALU_DEP_2)
	v_fma_f64 v[2:3], v[13:14], v[21:22], v[8:9]
	v_fma_f64 v[4:5], v[11:12], v[21:22], v[0:1]
	v_fma_f64 v[6:7], -v[13:14], v[21:22], v[8:9]
	v_fma_f64 v[8:9], v[11:12], v[21:22], -v[0:1]
	s_delay_alu instid0(VALU_DEP_4) | instskip(NEXT) | instid1(VALU_DEP_4)
	v_fma_f64 v[0:1], -v[11:12], v[19:20], v[2:3]
	v_fma_f64 v[2:3], v[13:14], v[19:20], v[4:5]
	s_delay_alu instid0(VALU_DEP_4) | instskip(NEXT) | instid1(VALU_DEP_4)
	v_fma_f64 v[4:5], v[11:12], v[19:20], v[6:7]
	v_fma_f64 v[6:7], v[13:14], v[19:20], v[8:9]
	ds_store_b128 v54, v[0:3] offset:8640
	ds_store_b128 v10, v[4:7] offset:20160
	ds_load_b128 v[0:3], v54 offset:11520
	ds_load_b128 v[4:7], v10 offset:17280
	s_wait_dscnt 0x0
	v_add_f64_e32 v[8:9], v[0:1], v[4:5]
	v_add_f64_e32 v[11:12], v[6:7], v[2:3]
	v_add_f64_e64 v[13:14], v[0:1], -v[4:5]
	v_add_f64_e64 v[0:1], v[2:3], -v[6:7]
	s_wait_loadcnt 0x0
	s_delay_alu instid0(VALU_DEP_2) | instskip(NEXT) | instid1(VALU_DEP_2)
	v_fma_f64 v[2:3], v[13:14], v[17:18], v[8:9]
	v_fma_f64 v[4:5], v[11:12], v[17:18], v[0:1]
	v_fma_f64 v[6:7], -v[13:14], v[17:18], v[8:9]
	v_fma_f64 v[8:9], v[11:12], v[17:18], -v[0:1]
	s_delay_alu instid0(VALU_DEP_4) | instskip(NEXT) | instid1(VALU_DEP_4)
	v_fma_f64 v[0:1], -v[11:12], v[15:16], v[2:3]
	v_fma_f64 v[2:3], v[13:14], v[15:16], v[4:5]
	s_delay_alu instid0(VALU_DEP_4) | instskip(NEXT) | instid1(VALU_DEP_4)
	v_fma_f64 v[4:5], v[11:12], v[15:16], v[6:7]
	v_fma_f64 v[6:7], v[13:14], v[15:16], v[8:9]
	ds_store_b128 v54, v[0:3] offset:11520
	ds_store_b128 v10, v[4:7] offset:17280
	global_wb scope:SCOPE_SE
	s_wait_dscnt 0x0
	s_barrier_signal -1
	s_barrier_wait -1
	global_inv scope:SCOPE_SE
	global_wb scope:SCOPE_SE
	s_barrier_signal -1
	s_barrier_wait -1
	global_inv scope:SCOPE_SE
	ds_load_b128 v[0:3], v54 offset:14400
	ds_load_b128 v[4:7], v54 offset:20160
	;; [unrolled: 1-line block ×9, first 2 shown]
	ds_load_b128 v[36:39], v54
	global_wb scope:SCOPE_SE
	s_wait_dscnt 0x0
	s_barrier_signal -1
	s_barrier_wait -1
	global_inv scope:SCOPE_SE
	v_add_f64_e32 v[40:41], v[0:1], v[4:5]
	v_add_f64_e32 v[46:47], v[2:3], v[6:7]
	;; [unrolled: 1-line block ×4, first 2 shown]
	v_add_f64_e64 v[52:53], v[14:15], -v[10:11]
	v_add_f64_e64 v[57:58], v[0:1], -v[4:5]
	v_add_f64_e64 v[55:56], v[2:3], -v[6:7]
	v_add_f64_e64 v[59:60], v[12:13], -v[8:9]
	v_add_f64_e32 v[61:62], v[20:21], v[24:25]
	v_add_f64_e32 v[63:64], v[16:17], v[28:29]
	;; [unrolled: 1-line block ×4, first 2 shown]
	v_add_f64_e64 v[69:70], v[12:13], -v[0:1]
	v_add_f64_e64 v[71:72], v[8:9], -v[4:5]
	;; [unrolled: 1-line block ×8, first 2 shown]
	v_add_f64_e32 v[12:13], v[32:33], v[12:13]
	v_add_f64_e32 v[14:15], v[34:35], v[14:15]
	v_add_f64_e64 v[93:94], v[18:19], -v[30:31]
	v_add_f64_e64 v[95:96], v[22:23], -v[26:27]
	;; [unrolled: 1-line block ×4, first 2 shown]
	v_fma_f64 v[40:41], v[40:41], -0.5, v[32:33]
	v_fma_f64 v[46:47], v[46:47], -0.5, v[34:35]
	;; [unrolled: 1-line block ×4, first 2 shown]
	v_add_f64_e32 v[32:33], v[36:37], v[16:17]
	v_add_f64_e32 v[34:35], v[38:39], v[18:19]
	v_fma_f64 v[61:62], v[61:62], -0.5, v[36:37]
	v_fma_f64 v[36:37], v[63:64], -0.5, v[36:37]
	;; [unrolled: 1-line block ×4, first 2 shown]
	v_add_f64_e32 v[65:66], v[69:70], v[71:72]
	v_add_f64_e32 v[67:68], v[73:74], v[75:76]
	;; [unrolled: 1-line block ×3, first 2 shown]
	v_add_f64_e64 v[77:78], v[28:29], -v[24:25]
	v_add_f64_e64 v[79:80], v[24:25], -v[28:29]
	v_add_f64_e32 v[0:1], v[12:13], v[0:1]
	v_add_f64_e32 v[2:3], v[14:15], v[2:3]
	v_fma_f64 v[83:84], v[52:53], s[2:3], v[40:41]
	s_wait_alu 0xfffe
	v_fma_f64 v[40:41], v[52:53], s[0:1], v[40:41]
	v_fma_f64 v[85:86], v[57:58], s[2:3], v[42:43]
	;; [unrolled: 1-line block ×10, first 2 shown]
	v_add_f64_e32 v[0:1], v[0:1], v[4:5]
	v_add_f64_e32 v[2:3], v[2:3], v[6:7]
	v_fma_f64 v[71:72], v[55:56], s[6:7], v[83:84]
	v_fma_f64 v[40:41], v[55:56], s[10:11], v[40:41]
	;; [unrolled: 1-line block ×6, first 2 shown]
	v_add_f64_e32 v[55:56], v[81:82], v[89:90]
	v_fma_f64 v[52:53], v[57:58], s[6:7], v[91:92]
	v_add_f64_e64 v[59:60], v[16:17], -v[20:21]
	v_add_f64_e64 v[16:17], v[20:21], -v[16:17]
	;; [unrolled: 1-line block ×4, first 2 shown]
	v_add_f64_e32 v[20:21], v[32:33], v[20:21]
	v_add_f64_e32 v[22:23], v[34:35], v[22:23]
	v_add_f64_e64 v[83:84], v[30:31], -v[26:27]
	v_fma_f64 v[32:33], v[95:96], s[0:1], v[36:37]
	v_fma_f64 v[34:35], v[95:96], s[2:3], v[36:37]
	;; [unrolled: 1-line block ×6, first 2 shown]
	v_add_f64_e64 v[85:86], v[26:27], -v[30:31]
	v_fma_f64 v[4:5], v[95:96], s[6:7], v[12:13]
	v_fma_f64 v[6:7], v[95:96], s[10:11], v[14:15]
	v_add_f64_e32 v[0:1], v[0:1], v[8:9]
	v_add_f64_e32 v[2:3], v[2:3], v[10:11]
	v_fma_f64 v[57:58], v[65:66], s[12:13], v[71:72]
	v_fma_f64 v[40:41], v[65:66], s[12:13], v[40:41]
	;; [unrolled: 1-line block ×7, first 2 shown]
	v_add_f64_e32 v[59:60], v[59:60], v[77:78]
	v_add_f64_e32 v[16:17], v[16:17], v[79:80]
	;; [unrolled: 1-line block ×5, first 2 shown]
	v_fma_f64 v[26:27], v[99:100], s[6:7], v[61:62]
	v_fma_f64 v[14:15], v[93:94], s[10:11], v[34:35]
	;; [unrolled: 1-line block ×6, first 2 shown]
	v_add_f64_e32 v[18:19], v[18:19], v[85:86]
	v_fma_f64 v[32:33], v[97:98], s[10:11], v[63:64]
	v_mul_f64_e32 v[38:39], s[14:15], v[57:58]
	v_mul_f64_e32 v[61:62], s[14:15], v[40:41]
	;; [unrolled: 1-line block ×8, first 2 shown]
	v_fma_f64 v[8:9], v[59:60], s[12:13], v[4:5]
	v_fma_f64 v[10:11], v[59:60], s[12:13], v[6:7]
	v_add_f64_e32 v[20:21], v[20:21], v[28:29]
	v_add_f64_e32 v[22:23], v[22:23], v[30:31]
	v_fma_f64 v[59:60], v[65:66], s[12:13], v[26:27]
	v_fma_f64 v[14:15], v[16:17], s[12:13], v[14:15]
	;; [unrolled: 1-line block ×8, first 2 shown]
	v_fma_f64 v[46:47], v[52:53], s[6:7], -v[61:62]
	v_fma_f64 v[52:53], v[36:37], s[14:15], v[57:58]
	v_fma_f64 v[42:43], v[42:43], s[2:3], -v[55:56]
	v_fma_f64 v[55:56], v[71:72], s[12:13], v[63:64]
	v_fma_f64 v[57:58], v[73:74], s[0:1], -v[67:68]
	v_fma_f64 v[40:41], v[40:41], s[10:11], -v[69:70]
	v_cmp_gt_u32_e64 s0, 0x78, v48
	v_add_f64_e32 v[4:5], v[20:21], v[0:1]
	v_add_f64_e32 v[6:7], v[22:23], v[2:3]
	v_add_f64_e64 v[16:17], v[20:21], -v[0:1]
	v_add_f64_e64 v[18:19], v[22:23], -v[2:3]
	v_add_f64_e32 v[20:21], v[8:9], v[28:29]
	v_add_f64_e64 v[8:9], v[8:9], -v[28:29]
	v_add_f64_e32 v[24:25], v[12:13], v[44:45]
	v_add_f64_e32 v[36:37], v[10:11], v[46:47]
	;; [unrolled: 1-line block ×7, first 2 shown]
	v_add_f64_e64 v[28:29], v[10:11], -v[46:47]
	v_add_f64_e64 v[10:11], v[30:31], -v[52:53]
	;; [unrolled: 1-line block ×7, first 2 shown]
	v_mad_u32_u24 v40, 0x90, v48, v54
	ds_store_b128 v40, v[4:7]
	ds_store_b128 v40, v[20:23] offset:16
	ds_store_b128 v40, v[24:27] offset:32
	;; [unrolled: 1-line block ×9, first 2 shown]
	global_wb scope:SCOPE_SE
	s_wait_dscnt 0x0
	s_barrier_signal -1
	s_barrier_wait -1
	global_inv scope:SCOPE_SE
	ds_load_b128 v[4:7], v54
	ds_load_b128 v[32:35], v54 offset:4800
	ds_load_b128 v[16:19], v54 offset:9600
	;; [unrolled: 1-line block ×5, first 2 shown]
                                        ; implicit-def: $vgpr46_vgpr47
                                        ; implicit-def: $vgpr26_vgpr27
	s_and_saveexec_b32 s1, s0
	s_cbranch_execz .LBB0_19
; %bb.18:
	ds_load_b128 v[8:11], v54 offset:2880
	ds_load_b128 v[12:15], v54 offset:7680
	;; [unrolled: 1-line block ×6, first 2 shown]
.LBB0_19:
	s_wait_alu 0xfffe
	s_or_b32 exec_lo, exec_lo, s1
	v_and_b32_e32 v52, 0xff, v48
	v_add_nc_u32_e32 v49, 0xb4, v48
	s_mov_b32 s2, 0xe8584caa
	s_mov_b32 s3, 0x3febb67a
	;; [unrolled: 1-line block ×3, first 2 shown]
	v_mul_lo_u16 v53, 0xcd, v52
	v_and_b32_e32 v55, 0xffff, v49
	s_wait_alu 0xfffe
	s_mov_b32 s6, s2
	s_delay_alu instid0(VALU_DEP_2) | instskip(NEXT) | instid1(VALU_DEP_2)
	v_lshrrev_b16 v108, 11, v53
	v_mul_u32_u24_e32 v53, 0xcccd, v55
	s_delay_alu instid0(VALU_DEP_2) | instskip(NEXT) | instid1(VALU_DEP_2)
	v_mul_lo_u16 v55, v108, 10
	v_lshrrev_b32_e32 v53, 19, v53
	s_delay_alu instid0(VALU_DEP_2) | instskip(NEXT) | instid1(VALU_DEP_2)
	v_sub_nc_u16 v55, v48, v55
	v_mul_lo_u16 v56, v53, 10
	s_delay_alu instid0(VALU_DEP_2) | instskip(NEXT) | instid1(VALU_DEP_2)
	v_and_b32_e32 v109, 0xff, v55
	v_sub_nc_u16 v55, v49, v56
	s_delay_alu instid0(VALU_DEP_2) | instskip(NEXT) | instid1(VALU_DEP_2)
	v_mul_u32_u24_e32 v56, 5, v109
	v_and_b32_e32 v55, 0xffff, v55
	s_delay_alu instid0(VALU_DEP_2) | instskip(NEXT) | instid1(VALU_DEP_2)
	v_lshlrev_b32_e32 v84, 4, v56
	v_mul_u32_u24_e32 v64, 5, v55
	s_clause 0x1
	global_load_b128 v[56:59], v84, s[4:5] offset:32
	global_load_b128 v[60:63], v84, s[4:5] offset:64
	v_lshlrev_b32_e32 v92, 4, v64
	s_clause 0x7
	global_load_b128 v[64:67], v92, s[4:5] offset:32
	global_load_b128 v[68:71], v92, s[4:5] offset:64
	global_load_b128 v[72:75], v84, s[4:5]
	global_load_b128 v[76:79], v92, s[4:5]
	global_load_b128 v[80:83], v84, s[4:5] offset:16
	global_load_b128 v[84:87], v84, s[4:5] offset:48
	;; [unrolled: 1-line block ×4, first 2 shown]
	global_wb scope:SCOPE_SE
	s_wait_loadcnt_dscnt 0x0
	s_barrier_signal -1
	s_barrier_wait -1
	global_inv scope:SCOPE_SE
	v_mul_f64_e32 v[100:101], v[30:31], v[66:67]
	v_mul_f64_e32 v[96:97], v[38:39], v[58:59]
	;; [unrolled: 1-line block ×10, first 2 shown]
	v_fma_f64 v[96:97], v[36:37], v[56:57], -v[96:97]
	v_fma_f64 v[56:57], v[38:39], v[56:57], v[58:59]
	v_fma_f64 v[42:43], v[42:43], v[60:61], v[98:99]
	v_fma_f64 v[40:41], v[40:41], v[60:61], -v[62:63]
	v_mul_f64_e32 v[58:59], v[14:15], v[78:79]
	v_mul_f64_e32 v[60:61], v[12:13], v[78:79]
	v_fma_f64 v[36:37], v[28:29], v[64:65], -v[100:101]
	v_fma_f64 v[38:39], v[30:31], v[64:65], v[66:67]
	v_fma_f64 v[30:31], v[46:47], v[68:69], v[102:103]
	v_fma_f64 v[28:29], v[44:45], v[68:69], -v[70:71]
	v_mul_f64_e32 v[44:45], v[18:19], v[82:83]
	v_mul_f64_e32 v[46:47], v[16:17], v[82:83]
	;; [unrolled: 1-line block ×4, first 2 shown]
	v_fma_f64 v[32:33], v[32:33], v[72:73], -v[104:105]
	v_fma_f64 v[34:35], v[34:35], v[72:73], v[74:75]
	v_mul_f64_e32 v[70:71], v[2:3], v[90:91]
	v_mul_f64_e32 v[72:73], v[0:1], v[90:91]
	;; [unrolled: 1-line block ×4, first 2 shown]
	v_add_f64_e32 v[66:67], v[56:57], v[42:43]
	v_add_f64_e32 v[68:69], v[96:97], v[40:41]
	v_fma_f64 v[12:13], v[12:13], v[76:77], -v[58:59]
	v_fma_f64 v[14:15], v[14:15], v[76:77], v[60:61]
	v_add_f64_e64 v[76:77], v[56:57], -v[42:43]
	v_add_f64_e32 v[58:59], v[38:39], v[30:31]
	v_add_f64_e32 v[60:61], v[36:37], v[28:29]
	v_fma_f64 v[44:45], v[16:17], v[80:81], -v[44:45]
	v_fma_f64 v[46:47], v[18:19], v[80:81], v[46:47]
	v_fma_f64 v[62:63], v[20:21], v[84:85], -v[62:63]
	v_fma_f64 v[64:65], v[22:23], v[84:85], v[64:65]
	v_add_f64_e64 v[80:81], v[96:97], -v[40:41]
	v_fma_f64 v[18:19], v[0:1], v[88:89], -v[70:71]
	v_fma_f64 v[22:23], v[2:3], v[88:89], v[72:73]
	v_fma_f64 v[16:17], v[24:25], v[92:93], -v[74:75]
	v_fma_f64 v[20:21], v[26:27], v[92:93], v[78:79]
	v_add_f64_e64 v[0:1], v[38:39], -v[30:31]
	v_add_f64_e64 v[2:3], v[36:37], -v[28:29]
	v_fma_f64 v[66:67], v[66:67], -0.5, v[34:35]
	v_fma_f64 v[68:69], v[68:69], -0.5, v[32:33]
	v_add_f64_e32 v[32:33], v[32:33], v[96:97]
	v_add_f64_e32 v[34:35], v[34:35], v[56:57]
	v_fma_f64 v[24:25], v[58:59], -0.5, v[14:15]
	v_fma_f64 v[26:27], v[60:61], -0.5, v[12:13]
	v_add_f64_e32 v[58:59], v[44:45], v[62:63]
	v_add_f64_e32 v[60:61], v[46:47], v[64:65]
	;; [unrolled: 1-line block ×3, first 2 shown]
	v_add_f64_e64 v[56:57], v[22:23], -v[20:21]
	v_add_f64_e64 v[86:87], v[18:19], -v[16:17]
	s_wait_alu 0xfffe
	v_fma_f64 v[70:71], v[80:81], s[6:7], v[66:67]
	v_fma_f64 v[72:73], v[76:77], s[6:7], v[68:69]
	;; [unrolled: 1-line block ×4, first 2 shown]
	v_add_f64_e32 v[76:77], v[22:23], v[20:21]
	v_add_f64_e32 v[96:97], v[32:33], v[40:41]
	v_fma_f64 v[78:79], v[2:3], s[6:7], v[24:25]
	v_fma_f64 v[80:81], v[0:1], s[6:7], v[26:27]
	;; [unrolled: 1-line block ×4, first 2 shown]
	v_add_f64_e32 v[24:25], v[4:5], v[44:45]
	v_add_f64_e32 v[26:27], v[6:7], v[46:47]
	v_add_f64_e64 v[46:47], v[46:47], -v[64:65]
	v_fma_f64 v[4:5], v[58:59], -0.5, v[4:5]
	v_add_f64_e64 v[44:45], v[44:45], -v[62:63]
	v_fma_f64 v[6:7], v[60:61], -0.5, v[6:7]
	v_fma_f64 v[74:75], v[74:75], -0.5, v[8:9]
	v_add_f64_e32 v[98:99], v[34:35], v[42:43]
	v_mul_f64_e32 v[58:59], s[2:3], v[70:71]
	v_mul_f64_e32 v[60:61], -0.5, v[72:73]
	v_mul_f64_e32 v[82:83], s[6:7], v[68:69]
	v_mul_f64_e32 v[84:85], -0.5, v[66:67]
	v_fma_f64 v[76:77], v[76:77], -0.5, v[10:11]
	v_mul_f64_e32 v[88:89], s[2:3], v[78:79]
	v_mul_f64_e32 v[90:91], -0.5, v[80:81]
	v_mul_f64_e32 v[92:93], s[6:7], v[0:1]
	v_mul_f64_e32 v[94:95], -0.5, v[2:3]
	v_add_f64_e32 v[62:63], v[24:25], v[62:63]
	v_add_f64_e32 v[64:65], v[26:27], v[64:65]
	v_fma_f64 v[100:101], v[46:47], s[2:3], v[4:5]
	v_fma_f64 v[4:5], v[46:47], s[6:7], v[4:5]
	;; [unrolled: 1-line block ×6, first 2 shown]
	v_fma_f64 v[104:105], v[68:69], 0.5, v[58:59]
	v_fma_f64 v[106:107], v[66:67], s[2:3], v[60:61]
	v_fma_f64 v[82:83], v[70:71], 0.5, v[82:83]
	v_fma_f64 v[84:85], v[72:73], s[6:7], v[84:85]
	v_fma_f64 v[40:41], v[86:87], s[6:7], v[76:77]
	;; [unrolled: 1-line block ×3, first 2 shown]
	v_fma_f64 v[26:27], v[0:1], 0.5, v[88:89]
	v_fma_f64 v[34:35], v[2:3], s[2:3], v[90:91]
	v_fma_f64 v[44:45], v[78:79], 0.5, v[92:93]
	v_fma_f64 v[46:47], v[80:81], s[6:7], v[94:95]
	v_add_f64_e32 v[56:57], v[62:63], v[96:97]
	v_add_f64_e32 v[58:59], v[64:65], v[98:99]
	v_add_f64_e64 v[60:61], v[62:63], -v[96:97]
	v_add_f64_e64 v[62:63], v[64:65], -v[98:99]
	v_and_b32_e32 v80, 0xffff, v108
	v_lshlrev_b32_e32 v81, 4, v109
	s_delay_alu instid0(VALU_DEP_2) | instskip(NEXT) | instid1(VALU_DEP_1)
	v_mul_u32_u24_e32 v80, 0x3c0, v80
	v_add3_u32 v80, 0, v80, v81
	v_add_f64_e32 v[64:65], v[100:101], v[104:105]
	v_add_f64_e32 v[68:69], v[4:5], v[106:107]
	v_add_f64_e64 v[76:77], v[4:5], -v[106:107]
	v_add_f64_e32 v[70:71], v[6:7], v[84:85]
	v_add_f64_e64 v[78:79], v[6:7], -v[84:85]
	;; [unrolled: 2-line block ×3, first 2 shown]
	v_add_f64_e64 v[4:5], v[32:33], -v[34:35]
	v_add_f64_e64 v[2:3], v[40:41], -v[44:45]
	;; [unrolled: 1-line block ×5, first 2 shown]
	ds_store_b128 v80, v[56:59]
	ds_store_b128 v80, v[64:67] offset:160
	ds_store_b128 v80, v[68:71] offset:320
	;; [unrolled: 1-line block ×5, first 2 shown]
	s_and_saveexec_b32 s1, s0
	s_cbranch_execz .LBB0_21
; %bb.20:
	v_add_f64_e32 v[10:11], v[10:11], v[22:23]
	v_add_f64_e32 v[14:15], v[14:15], v[38:39]
	;; [unrolled: 1-line block ×4, first 2 shown]
	s_delay_alu instid0(VALU_DEP_4) | instskip(NEXT) | instid1(VALU_DEP_4)
	v_add_f64_e32 v[20:21], v[10:11], v[20:21]
	v_add_f64_e32 v[22:23], v[14:15], v[30:31]
	s_delay_alu instid0(VALU_DEP_4) | instskip(NEXT) | instid1(VALU_DEP_4)
	v_add_f64_e32 v[30:31], v[8:9], v[16:17]
	v_add_f64_e32 v[28:29], v[12:13], v[28:29]
	;; [unrolled: 1-line block ×6, first 2 shown]
	v_mul_lo_u16 v24, v53, 60
	v_lshlrev_b32_e32 v25, 4, v55
	s_delay_alu instid0(VALU_DEP_2) | instskip(NEXT) | instid1(VALU_DEP_1)
	v_and_b32_e32 v24, 0xffff, v24
	v_lshlrev_b32_e32 v24, 4, v24
	s_delay_alu instid0(VALU_DEP_1)
	v_add3_u32 v24, 0, v25, v24
	v_add_f64_e32 v[18:19], v[20:21], v[22:23]
	v_add_f64_e64 v[22:23], v[20:21], -v[22:23]
	v_add_f64_e32 v[16:17], v[30:31], v[28:29]
	v_add_f64_e64 v[20:21], v[30:31], -v[28:29]
	ds_store_b128 v24, v[16:19]
	ds_store_b128 v24, v[12:15] offset:160
	ds_store_b128 v24, v[8:11] offset:320
	;; [unrolled: 1-line block ×5, first 2 shown]
.LBB0_21:
	s_wait_alu 0xfffe
	s_or_b32 exec_lo, exec_lo, s1
	v_mul_lo_u16 v8, 0x89, v52
	global_wb scope:SCOPE_SE
	s_wait_dscnt 0x0
	s_barrier_signal -1
	s_barrier_wait -1
	global_inv scope:SCOPE_SE
	v_lshrrev_b16 v12, 13, v8
	s_mov_b32 s2, 0x134454ff
	s_mov_b32 s3, 0x3fee6f0e
	;; [unrolled: 1-line block ×3, first 2 shown]
	s_wait_alu 0xfffe
	s_mov_b32 s0, s2
	v_mul_lo_u16 v8, v12, 60
	s_mov_b32 s10, 0x4755a5e
	s_mov_b32 s11, 0x3fe2cf23
	;; [unrolled: 1-line block ×3, first 2 shown]
	s_wait_alu 0xfffe
	s_mov_b32 s6, s10
	v_sub_nc_u16 v8, v48, v8
	v_and_b32_e32 v12, 0xffff, v12
	s_delay_alu instid0(VALU_DEP_2) | instskip(NEXT) | instid1(VALU_DEP_2)
	v_and_b32_e32 v13, 0xff, v8
	v_mul_u32_u24_e32 v12, 0x2580, v12
	s_delay_alu instid0(VALU_DEP_2) | instskip(SKIP_1) | instid1(VALU_DEP_2)
	v_mul_u32_u24_e32 v8, 9, v13
	v_lshlrev_b32_e32 v13, 4, v13
	v_lshlrev_b32_e32 v42, 4, v8
	s_delay_alu instid0(VALU_DEP_2)
	v_add3_u32 v12, 0, v12, v13
	s_clause 0x8
	global_load_b128 v[8:11], v42, s[4:5] offset:864
	global_load_b128 v[14:17], v42, s[4:5] offset:832
	;; [unrolled: 1-line block ×9, first 2 shown]
	ds_load_b128 v[55:58], v54 offset:14400
	ds_load_b128 v[59:62], v54 offset:8640
	;; [unrolled: 1-line block ×9, first 2 shown]
	ds_load_b128 v[91:94], v54
	global_wb scope:SCOPE_SE
	s_wait_loadcnt_dscnt 0x0
	s_barrier_signal -1
	s_barrier_wait -1
	global_inv scope:SCOPE_SE
	v_mul_f64_e32 v[46:47], v[57:58], v[10:11]
	v_mul_f64_e32 v[10:11], v[55:56], v[10:11]
	;; [unrolled: 1-line block ×10, first 2 shown]
	v_fma_f64 v[46:47], v[55:56], v[8:9], -v[46:47]
	v_fma_f64 v[8:9], v[57:58], v[8:9], v[10:11]
	v_fma_f64 v[10:11], v[65:66], v[18:19], v[95:96]
	v_fma_f64 v[18:19], v[63:64], v[18:19], -v[20:21]
	v_fma_f64 v[52:53], v[59:60], v[14:15], -v[52:53]
	v_fma_f64 v[14:15], v[61:62], v[14:15], v[16:17]
	v_fma_f64 v[16:17], v[69:70], v[22:23], v[97:98]
	v_fma_f64 v[22:23], v[67:68], v[22:23], -v[24:25]
	v_mul_f64_e32 v[20:21], v[73:74], v[32:33]
	v_mul_f64_e32 v[24:25], v[77:78], v[36:37]
	;; [unrolled: 1-line block ×6, first 2 shown]
	v_fma_f64 v[59:60], v[87:88], v[26:27], -v[99:100]
	v_fma_f64 v[26:27], v[89:90], v[26:27], v[28:29]
	v_mul_f64_e32 v[32:33], v[71:72], v[32:33]
	v_mul_f64_e32 v[44:45], v[83:84], v[44:45]
	v_add_f64_e32 v[28:29], v[8:9], v[10:11]
	v_add_f64_e32 v[65:66], v[46:47], v[18:19]
	v_add_f64_e64 v[67:68], v[52:53], -v[46:47]
	v_add_f64_e32 v[61:62], v[14:15], v[16:17]
	v_add_f64_e32 v[63:64], v[52:53], v[22:23]
	v_fma_f64 v[20:21], v[71:72], v[30:31], -v[20:21]
	v_fma_f64 v[24:25], v[75:76], v[34:35], -v[24:25]
	v_fma_f64 v[34:35], v[77:78], v[34:35], v[36:37]
	v_fma_f64 v[36:37], v[79:80], v[38:39], -v[55:56]
	v_fma_f64 v[55:56], v[83:84], v[42:43], -v[57:58]
	v_fma_f64 v[38:39], v[81:82], v[38:39], v[40:41]
	v_add_f64_e64 v[40:41], v[14:15], -v[16:17]
	v_add_f64_e64 v[57:58], v[52:53], -v[22:23]
	v_fma_f64 v[30:31], v[73:74], v[30:31], v[32:33]
	v_fma_f64 v[32:33], v[85:86], v[42:43], v[44:45]
	v_add_f64_e64 v[42:43], v[8:9], -v[10:11]
	v_add_f64_e64 v[44:45], v[46:47], -v[18:19]
	;; [unrolled: 1-line block ×9, first 2 shown]
	v_add_f64_e32 v[52:53], v[59:60], v[52:53]
	v_add_f64_e32 v[14:15], v[26:27], v[14:15]
	v_fma_f64 v[28:29], v[28:29], -0.5, v[26:27]
	v_fma_f64 v[65:66], v[65:66], -0.5, v[59:60]
	;; [unrolled: 1-line block ×4, first 2 shown]
	v_add_f64_e32 v[26:27], v[91:92], v[20:21]
	v_add_f64_e32 v[75:76], v[24:25], v[36:37]
	;; [unrolled: 1-line block ×4, first 2 shown]
	v_add_f64_e64 v[105:106], v[34:35], -v[38:39]
	v_add_f64_e64 v[107:108], v[20:21], -v[55:56]
	v_add_f64_e32 v[59:60], v[93:94], v[30:31]
	v_add_f64_e32 v[87:88], v[30:31], v[32:33]
	v_add_f64_e64 v[103:104], v[30:31], -v[32:33]
	v_add_f64_e64 v[109:110], v[24:25], -v[36:37]
	v_add_f64_e32 v[67:68], v[67:68], v[69:70]
	v_add_f64_e32 v[71:72], v[71:72], v[73:74]
	;; [unrolled: 1-line block ×5, first 2 shown]
	v_fma_f64 v[95:96], v[57:58], s[0:1], v[28:29]
	v_fma_f64 v[101:102], v[40:41], s[0:1], v[65:66]
	;; [unrolled: 1-line block ×8, first 2 shown]
	v_fma_f64 v[75:76], v[75:76], -0.5, v[91:92]
	v_fma_f64 v[69:70], v[79:80], -0.5, v[91:92]
	;; [unrolled: 1-line block ×3, first 2 shown]
	v_add_f64_e64 v[91:92], v[32:33], -v[38:39]
	v_fma_f64 v[79:80], v[87:88], -0.5, v[93:94]
	v_add_f64_e64 v[93:94], v[38:39], -v[32:33]
	v_add_f64_e32 v[8:9], v[8:9], v[10:11]
	s_wait_alu 0xfffe
	v_fma_f64 v[83:84], v[44:45], s[6:7], v[95:96]
	v_fma_f64 v[89:90], v[42:43], s[6:7], v[101:102]
	;; [unrolled: 1-line block ×8, first 2 shown]
	v_add_f64_e64 v[44:45], v[20:21], -v[24:25]
	v_add_f64_e64 v[20:21], v[24:25], -v[20:21]
	;; [unrolled: 1-line block ×4, first 2 shown]
	v_add_f64_e32 v[24:25], v[26:27], v[24:25]
	v_add_f64_e32 v[26:27], v[59:60], v[34:35]
	;; [unrolled: 1-line block ×3, first 2 shown]
	v_add_f64_e64 v[61:62], v[55:56], -v[36:37]
	v_fma_f64 v[14:15], v[103:104], s[2:3], v[75:76]
	v_fma_f64 v[52:53], v[105:106], s[0:1], v[69:70]
	;; [unrolled: 1-line block ×4, first 2 shown]
	v_add_f64_e64 v[65:66], v[36:37], -v[55:56]
	v_fma_f64 v[46:47], v[103:104], s[0:1], v[75:76]
	v_fma_f64 v[73:74], v[107:108], s[2:3], v[73:74]
	;; [unrolled: 1-line block ×4, first 2 shown]
	v_add_f64_e32 v[8:9], v[8:9], v[16:17]
	v_fma_f64 v[83:84], v[77:78], s[12:13], v[83:84]
	v_fma_f64 v[89:90], v[67:68], s[12:13], v[89:90]
	;; [unrolled: 1-line block ×8, first 2 shown]
	v_add_f64_e32 v[30:31], v[30:31], v[93:94]
	v_add_f64_e32 v[24:25], v[24:25], v[36:37]
	;; [unrolled: 1-line block ×6, first 2 shown]
	v_fma_f64 v[10:11], v[105:106], s[10:11], v[14:15]
	v_fma_f64 v[34:35], v[103:104], s[10:11], v[52:53]
	;; [unrolled: 1-line block ×3, first 2 shown]
	v_add_f64_e32 v[20:21], v[20:21], v[65:66]
	v_fma_f64 v[14:15], v[105:106], s[6:7], v[46:47]
	v_fma_f64 v[46:47], v[109:110], s[10:11], v[73:74]
	;; [unrolled: 1-line block ×5, first 2 shown]
	v_mul_f64_e32 v[63:64], s[10:11], v[83:84]
	v_mul_f64_e32 v[69:70], s[14:15], v[89:90]
	;; [unrolled: 1-line block ×8, first 2 shown]
	v_add_f64_e32 v[24:25], v[24:25], v[55:56]
	v_add_f64_e32 v[26:27], v[26:27], v[32:33]
	;; [unrolled: 1-line block ×3, first 2 shown]
	v_fma_f64 v[10:11], v[44:45], s[12:13], v[10:11]
	v_fma_f64 v[81:82], v[61:62], s[12:13], v[38:39]
	;; [unrolled: 1-line block ×9, first 2 shown]
	v_fma_f64 v[61:62], v[28:29], s[10:11], -v[69:70]
	v_fma_f64 v[63:64], v[83:84], s[14:15], v[71:72]
	v_fma_f64 v[69:70], v[89:90], s[6:7], -v[77:78]
	v_fma_f64 v[40:41], v[40:41], s[12:13], v[65:66]
	;; [unrolled: 2-line block ×3, first 2 shown]
	v_fma_f64 v[67:68], v[87:88], s[0:1], -v[75:76]
	v_cmp_gt_u32_e64 s0, 60, v48
	v_add_f64_e32 v[16:17], v[26:27], v[8:9]
	v_add_f64_e32 v[14:15], v[24:25], v[18:19]
	v_add_f64_e64 v[18:19], v[24:25], -v[18:19]
	v_add_f64_e64 v[20:21], v[26:27], -v[8:9]
	v_add_f64_e32 v[22:23], v[10:11], v[38:39]
	v_add_f64_e32 v[34:35], v[44:45], v[61:62]
	;; [unrolled: 1-line block ×8, first 2 shown]
	v_add_f64_e64 v[38:39], v[10:11], -v[38:39]
	v_add_f64_e64 v[42:43], v[55:56], -v[40:41]
	;; [unrolled: 1-line block ×8, first 2 shown]
	ds_store_b128 v12, v[14:17]
	ds_store_b128 v12, v[22:25] offset:960
	ds_store_b128 v12, v[26:29] offset:1920
	;; [unrolled: 1-line block ×9, first 2 shown]
	global_wb scope:SCOPE_SE
	s_wait_dscnt 0x0
	s_barrier_signal -1
	s_barrier_wait -1
	global_inv scope:SCOPE_SE
	ds_load_b128 v[20:23], v54
	ds_load_b128 v[12:15], v54 offset:2880
	ds_load_b128 v[36:39], v54 offset:19200
	;; [unrolled: 1-line block ×8, first 2 shown]
	s_and_saveexec_b32 s1, s0
	s_cbranch_execz .LBB0_23
; %bb.22:
	ds_load_b128 v[8:11], v54 offset:8640
	ds_load_b128 v[0:3], v54 offset:18240
	;; [unrolled: 1-line block ×3, first 2 shown]
.LBB0_23:
	s_wait_alu 0xfffe
	s_or_b32 exec_lo, exec_lo, s1
	v_dual_mov_b32 v53, 0 :: v_dual_lshlrev_b32 v52, 1, v48
	v_lshlrev_b32_e32 v57, 1, v49
	s_mov_b32 s2, 0xe8584caa
	s_mov_b32 s3, 0x3febb67a
	;; [unrolled: 1-line block ×3, first 2 shown]
	v_mov_b32_e32 v58, v53
	v_lshlrev_b64_e32 v[55:56], 4, v[52:53]
	v_add_nc_u32_e32 v52, 0x2d0, v52
	s_wait_alu 0xfffe
	s_mov_b32 s6, s2
	v_lshlrev_b64_e32 v[63:64], 4, v[57:58]
	s_delay_alu instid0(VALU_DEP_3) | instskip(SKIP_3) | instid1(VALU_DEP_4)
	v_add_co_u32 v59, s1, s4, v55
	v_lshlrev_b64_e32 v[65:66], 4, v[52:53]
	s_wait_alu 0xf1ff
	v_add_co_ci_u32_e64 v60, s1, s5, v56, s1
	v_add_co_u32 v67, s1, s4, v63
	s_wait_alu 0xf1ff
	v_add_co_ci_u32_e64 v68, s1, s5, v64, s1
	s_clause 0x1
	global_load_b128 v[55:58], v[59:60], off offset:9456
	global_load_b128 v[59:62], v[59:60], off offset:9440
	v_add_co_u32 v75, s1, s4, v65
	s_wait_alu 0xf1ff
	v_add_co_ci_u32_e64 v76, s1, s5, v66, s1
	s_clause 0x3
	global_load_b128 v[63:66], v[67:68], off offset:9440
	global_load_b128 v[67:70], v[67:68], off offset:9456
	global_load_b128 v[71:74], v[75:76], off offset:9440
	global_load_b128 v[75:78], v[75:76], off offset:9456
	global_wb scope:SCOPE_SE
	s_wait_loadcnt_dscnt 0x0
	s_barrier_signal -1
	s_barrier_wait -1
	global_inv scope:SCOPE_SE
	v_mul_f64_e32 v[81:82], v[38:39], v[57:58]
	v_mul_f64_e32 v[79:80], v[46:47], v[61:62]
	;; [unrolled: 1-line block ×12, first 2 shown]
	v_fma_f64 v[36:37], v[36:37], v[55:56], -v[81:82]
	v_fma_f64 v[44:45], v[44:45], v[59:60], -v[79:80]
	v_fma_f64 v[46:47], v[46:47], v[59:60], v[61:62]
	v_fma_f64 v[38:39], v[38:39], v[55:56], v[57:58]
	v_fma_f64 v[40:41], v[40:41], v[63:64], -v[83:84]
	v_fma_f64 v[24:25], v[24:25], v[67:68], -v[85:86]
	v_fma_f64 v[42:43], v[42:43], v[63:64], v[65:66]
	v_fma_f64 v[26:27], v[26:27], v[67:68], v[69:70]
	;; [unrolled: 4-line block ×3, first 2 shown]
	v_add_f64_e32 v[55:56], v[44:45], v[36:37]
	v_add_f64_e32 v[67:68], v[20:21], v[44:45]
	;; [unrolled: 1-line block ×3, first 2 shown]
	v_add_f64_e64 v[69:70], v[46:47], -v[38:39]
	v_add_f64_e32 v[59:60], v[40:41], v[24:25]
	v_add_f64_e32 v[46:47], v[22:23], v[46:47]
	;; [unrolled: 1-line block ×7, first 2 shown]
	v_add_f64_e64 v[44:45], v[44:45], -v[36:37]
	v_add_f64_e32 v[75:76], v[16:17], v[28:29]
	v_add_f64_e32 v[77:78], v[18:19], v[30:31]
	v_add_f64_e64 v[42:43], v[42:43], -v[26:27]
	v_add_f64_e64 v[40:41], v[40:41], -v[24:25]
	;; [unrolled: 1-line block ×4, first 2 shown]
	v_fma_f64 v[55:56], v[55:56], -0.5, v[20:21]
	v_fma_f64 v[57:58], v[57:58], -0.5, v[22:23]
	;; [unrolled: 1-line block ×3, first 2 shown]
	v_add_f64_e32 v[12:13], v[67:68], v[36:37]
	v_fma_f64 v[61:62], v[61:62], -0.5, v[14:15]
	v_add_f64_e32 v[14:15], v[46:47], v[38:39]
	v_fma_f64 v[63:64], v[63:64], -0.5, v[16:17]
	;; [unrolled: 2-line block ×3, first 2 shown]
	v_add_f64_e32 v[18:19], v[73:74], v[26:27]
	v_add_f64_e32 v[20:21], v[75:76], v[32:33]
	;; [unrolled: 1-line block ×3, first 2 shown]
	v_fma_f64 v[24:25], v[69:70], s[2:3], v[55:56]
	s_wait_alu 0xfffe
	v_fma_f64 v[28:29], v[69:70], s[6:7], v[55:56]
	v_fma_f64 v[26:27], v[44:45], s[6:7], v[57:58]
	;; [unrolled: 1-line block ×11, first 2 shown]
	ds_store_b128 v54, v[12:15]
	ds_store_b128 v54, v[16:19] offset:2880
	ds_store_b128 v54, v[24:27] offset:9600
	;; [unrolled: 1-line block ×8, first 2 shown]
	s_and_saveexec_b32 s1, s0
	s_cbranch_execz .LBB0_25
; %bb.24:
	v_mov_b32_e32 v12, 0x21c
	s_delay_alu instid0(VALU_DEP_1) | instskip(NEXT) | instid1(VALU_DEP_1)
	v_cndmask_b32_e64 v12, 0xffffffc4, v12, s0
	v_add_lshl_u32 v52, v48, v12, 1
	s_delay_alu instid0(VALU_DEP_1) | instskip(NEXT) | instid1(VALU_DEP_1)
	v_lshlrev_b64_e32 v[12:13], 4, v[52:53]
	v_add_co_u32 v16, s0, s4, v12
	s_wait_alu 0xf1ff
	s_delay_alu instid0(VALU_DEP_2)
	v_add_co_ci_u32_e64 v17, s0, s5, v13, s0
	s_clause 0x1
	global_load_b128 v[12:15], v[16:17], off offset:9440
	global_load_b128 v[16:19], v[16:17], off offset:9456
	s_wait_loadcnt 0x1
	v_mul_f64_e32 v[20:21], v[0:1], v[14:15]
	s_wait_loadcnt 0x0
	v_mul_f64_e32 v[22:23], v[4:5], v[18:19]
	v_mul_f64_e32 v[14:15], v[2:3], v[14:15]
	;; [unrolled: 1-line block ×3, first 2 shown]
	s_delay_alu instid0(VALU_DEP_4) | instskip(NEXT) | instid1(VALU_DEP_4)
	v_fma_f64 v[2:3], v[2:3], v[12:13], v[20:21]
	v_fma_f64 v[6:7], v[6:7], v[16:17], v[22:23]
	s_delay_alu instid0(VALU_DEP_4) | instskip(NEXT) | instid1(VALU_DEP_4)
	v_fma_f64 v[0:1], v[0:1], v[12:13], -v[14:15]
	v_fma_f64 v[4:5], v[4:5], v[16:17], -v[18:19]
	s_delay_alu instid0(VALU_DEP_4) | instskip(NEXT) | instid1(VALU_DEP_4)
	v_add_f64_e32 v[18:19], v[10:11], v[2:3]
	v_add_f64_e32 v[12:13], v[2:3], v[6:7]
	s_delay_alu instid0(VALU_DEP_3) | instskip(SKIP_2) | instid1(VALU_DEP_4)
	v_add_f64_e32 v[14:15], v[0:1], v[4:5]
	v_add_f64_e64 v[16:17], v[0:1], -v[4:5]
	v_add_f64_e32 v[0:1], v[8:9], v[0:1]
	v_fma_f64 v[10:11], v[12:13], -0.5, v[10:11]
	v_add_f64_e64 v[12:13], v[2:3], -v[6:7]
	v_fma_f64 v[14:15], v[14:15], -0.5, v[8:9]
	v_add_f64_e32 v[2:3], v[18:19], v[6:7]
	v_add_f64_e32 v[0:1], v[0:1], v[4:5]
	v_fma_f64 v[6:7], v[16:17], s[2:3], v[10:11]
	v_fma_f64 v[10:11], v[16:17], s[6:7], v[10:11]
	;; [unrolled: 1-line block ×4, first 2 shown]
	ds_store_b128 v54, v[0:3] offset:8640
	ds_store_b128 v54, v[8:11] offset:18240
	;; [unrolled: 1-line block ×3, first 2 shown]
.LBB0_25:
	s_wait_alu 0xfffe
	s_or_b32 exec_lo, exec_lo, s1
	global_wb scope:SCOPE_SE
	s_wait_dscnt 0x0
	s_barrier_signal -1
	s_barrier_wait -1
	global_inv scope:SCOPE_SE
	s_and_saveexec_b32 s0, vcc_lo
	s_cbranch_execz .LBB0_27
; %bb.26:
	v_dual_mov_b32 v49, 0 :: v_dual_add_nc_u32 v8, 0xb4, v48
	v_add_co_u32 v36, vcc_lo, s8, v50
	v_lshl_add_u32 v34, v48, 4, 0
	s_delay_alu instid0(VALU_DEP_3) | instskip(SKIP_4) | instid1(VALU_DEP_4)
	v_lshlrev_b64_e32 v[0:1], 4, v[48:49]
	s_wait_alu 0xfffd
	v_add_co_ci_u32_e32 v37, vcc_lo, s9, v51, vcc_lo
	v_dual_mov_b32 v9, v49 :: v_dual_add_nc_u32 v10, 0x168, v48
	v_dual_mov_b32 v11, v49 :: v_dual_add_nc_u32 v22, 0x21c, v48
	v_add_co_u32 v16, vcc_lo, v36, v0
	s_wait_alu 0xfffd
	v_add_co_ci_u32_e32 v17, vcc_lo, v37, v1, vcc_lo
	ds_load_b128 v[0:3], v34
	ds_load_b128 v[4:7], v34 offset:2880
	v_lshlrev_b64_e32 v[18:19], 4, v[8:9]
	v_lshlrev_b64_e32 v[20:21], 4, v[10:11]
	ds_load_b128 v[8:11], v34 offset:5760
	ds_load_b128 v[12:15], v34 offset:8640
	v_dual_mov_b32 v23, v49 :: v_dual_add_nc_u32 v24, 0x2d0, v48
	v_mov_b32_e32 v25, v49
	v_add_co_u32 v18, vcc_lo, v36, v18
	s_delay_alu instid0(VALU_DEP_3)
	v_lshlrev_b64_e32 v[22:23], 4, v[22:23]
	s_wait_alu 0xfffd
	v_add_co_ci_u32_e32 v19, vcc_lo, v37, v19, vcc_lo
	v_add_co_u32 v20, vcc_lo, v36, v20
	s_wait_alu 0xfffd
	v_add_co_ci_u32_e32 v21, vcc_lo, v37, v21, vcc_lo
	v_add_co_u32 v22, vcc_lo, v36, v22
	s_wait_dscnt 0x3
	global_store_b128 v[16:17], v[0:3], off
	s_wait_dscnt 0x2
	global_store_b128 v[18:19], v[4:7], off
	v_dual_mov_b32 v3, v49 :: v_dual_add_nc_u32 v2, 0x384, v48
	s_wait_alu 0xfffd
	v_add_co_ci_u32_e32 v23, vcc_lo, v37, v23, vcc_lo
	v_lshlrev_b64_e32 v[0:1], 4, v[24:25]
	s_wait_dscnt 0x1
	global_store_b128 v[20:21], v[8:11], off
	s_wait_dscnt 0x0
	global_store_b128 v[22:23], v[12:15], off
	v_add_nc_u32_e32 v10, 0x438, v48
	v_lshlrev_b64_e32 v[8:9], 4, v[2:3]
	v_dual_mov_b32 v11, v49 :: v_dual_add_nc_u32 v16, 0x4ec, v48
	v_add_co_u32 v24, vcc_lo, v36, v0
	s_wait_alu 0xfffd
	v_add_co_ci_u32_e32 v25, vcc_lo, v37, v1, vcc_lo
	s_delay_alu instid0(VALU_DEP_4)
	v_add_co_u32 v26, vcc_lo, v36, v8
	s_wait_alu 0xfffd
	v_add_co_ci_u32_e32 v27, vcc_lo, v37, v9, vcc_lo
	v_lshlrev_b64_e32 v[8:9], 4, v[10:11]
	v_dual_mov_b32 v17, v49 :: v_dual_add_nc_u32 v18, 0x5a0, v48
	v_dual_mov_b32 v19, v49 :: v_dual_add_nc_u32 v48, 0x654, v48
	ds_load_b128 v[0:3], v34 offset:11520
	ds_load_b128 v[4:7], v34 offset:14400
	v_add_co_u32 v28, vcc_lo, v36, v8
	s_wait_alu 0xfffd
	v_add_co_ci_u32_e32 v29, vcc_lo, v37, v9, vcc_lo
	ds_load_b128 v[8:11], v34 offset:17280
	ds_load_b128 v[12:15], v34 offset:20160
	v_lshlrev_b64_e32 v[30:31], 4, v[16:17]
	v_lshlrev_b64_e32 v[32:33], 4, v[18:19]
	ds_load_b128 v[16:19], v34 offset:23040
	ds_load_b128 v[20:23], v34 offset:25920
	v_lshlrev_b64_e32 v[34:35], 4, v[48:49]
	v_add_co_u32 v30, vcc_lo, v36, v30
	s_wait_alu 0xfffd
	v_add_co_ci_u32_e32 v31, vcc_lo, v37, v31, vcc_lo
	v_add_co_u32 v32, vcc_lo, v36, v32
	s_wait_alu 0xfffd
	v_add_co_ci_u32_e32 v33, vcc_lo, v37, v33, vcc_lo
	;; [unrolled: 3-line block ×3, first 2 shown]
	s_wait_dscnt 0x5
	global_store_b128 v[24:25], v[0:3], off
	s_wait_dscnt 0x4
	global_store_b128 v[26:27], v[4:7], off
	;; [unrolled: 2-line block ×6, first 2 shown]
.LBB0_27:
	s_nop 0
	s_sendmsg sendmsg(MSG_DEALLOC_VGPRS)
	s_endpgm
	.section	.rodata,"a",@progbits
	.p2align	6, 0x0
	.amdhsa_kernel fft_rtc_fwd_len1800_factors_10_6_10_3_wgs_180_tpt_180_halfLds_dp_ip_CI_unitstride_sbrr_C2R_dirReg
		.amdhsa_group_segment_fixed_size 0
		.amdhsa_private_segment_fixed_size 0
		.amdhsa_kernarg_size 88
		.amdhsa_user_sgpr_count 2
		.amdhsa_user_sgpr_dispatch_ptr 0
		.amdhsa_user_sgpr_queue_ptr 0
		.amdhsa_user_sgpr_kernarg_segment_ptr 1
		.amdhsa_user_sgpr_dispatch_id 0
		.amdhsa_user_sgpr_private_segment_size 0
		.amdhsa_wavefront_size32 1
		.amdhsa_uses_dynamic_stack 0
		.amdhsa_enable_private_segment 0
		.amdhsa_system_sgpr_workgroup_id_x 1
		.amdhsa_system_sgpr_workgroup_id_y 0
		.amdhsa_system_sgpr_workgroup_id_z 0
		.amdhsa_system_sgpr_workgroup_info 0
		.amdhsa_system_vgpr_workitem_id 0
		.amdhsa_next_free_vgpr 111
		.amdhsa_next_free_sgpr 32
		.amdhsa_reserve_vcc 1
		.amdhsa_float_round_mode_32 0
		.amdhsa_float_round_mode_16_64 0
		.amdhsa_float_denorm_mode_32 3
		.amdhsa_float_denorm_mode_16_64 3
		.amdhsa_fp16_overflow 0
		.amdhsa_workgroup_processor_mode 1
		.amdhsa_memory_ordered 1
		.amdhsa_forward_progress 0
		.amdhsa_round_robin_scheduling 0
		.amdhsa_exception_fp_ieee_invalid_op 0
		.amdhsa_exception_fp_denorm_src 0
		.amdhsa_exception_fp_ieee_div_zero 0
		.amdhsa_exception_fp_ieee_overflow 0
		.amdhsa_exception_fp_ieee_underflow 0
		.amdhsa_exception_fp_ieee_inexact 0
		.amdhsa_exception_int_div_zero 0
	.end_amdhsa_kernel
	.text
.Lfunc_end0:
	.size	fft_rtc_fwd_len1800_factors_10_6_10_3_wgs_180_tpt_180_halfLds_dp_ip_CI_unitstride_sbrr_C2R_dirReg, .Lfunc_end0-fft_rtc_fwd_len1800_factors_10_6_10_3_wgs_180_tpt_180_halfLds_dp_ip_CI_unitstride_sbrr_C2R_dirReg
                                        ; -- End function
	.section	.AMDGPU.csdata,"",@progbits
; Kernel info:
; codeLenInByte = 9060
; NumSgprs: 34
; NumVgprs: 111
; ScratchSize: 0
; MemoryBound: 0
; FloatMode: 240
; IeeeMode: 1
; LDSByteSize: 0 bytes/workgroup (compile time only)
; SGPRBlocks: 4
; VGPRBlocks: 13
; NumSGPRsForWavesPerEU: 34
; NumVGPRsForWavesPerEU: 111
; Occupancy: 12
; WaveLimiterHint : 1
; COMPUTE_PGM_RSRC2:SCRATCH_EN: 0
; COMPUTE_PGM_RSRC2:USER_SGPR: 2
; COMPUTE_PGM_RSRC2:TRAP_HANDLER: 0
; COMPUTE_PGM_RSRC2:TGID_X_EN: 1
; COMPUTE_PGM_RSRC2:TGID_Y_EN: 0
; COMPUTE_PGM_RSRC2:TGID_Z_EN: 0
; COMPUTE_PGM_RSRC2:TIDIG_COMP_CNT: 0
	.text
	.p2alignl 7, 3214868480
	.fill 96, 4, 3214868480
	.type	__hip_cuid_f707f7a1c6563626,@object ; @__hip_cuid_f707f7a1c6563626
	.section	.bss,"aw",@nobits
	.globl	__hip_cuid_f707f7a1c6563626
__hip_cuid_f707f7a1c6563626:
	.byte	0                               ; 0x0
	.size	__hip_cuid_f707f7a1c6563626, 1

	.ident	"AMD clang version 19.0.0git (https://github.com/RadeonOpenCompute/llvm-project roc-6.4.0 25133 c7fe45cf4b819c5991fe208aaa96edf142730f1d)"
	.section	".note.GNU-stack","",@progbits
	.addrsig
	.addrsig_sym __hip_cuid_f707f7a1c6563626
	.amdgpu_metadata
---
amdhsa.kernels:
  - .args:
      - .actual_access:  read_only
        .address_space:  global
        .offset:         0
        .size:           8
        .value_kind:     global_buffer
      - .offset:         8
        .size:           8
        .value_kind:     by_value
      - .actual_access:  read_only
        .address_space:  global
        .offset:         16
        .size:           8
        .value_kind:     global_buffer
      - .actual_access:  read_only
        .address_space:  global
        .offset:         24
        .size:           8
        .value_kind:     global_buffer
      - .offset:         32
        .size:           8
        .value_kind:     by_value
      - .actual_access:  read_only
        .address_space:  global
        .offset:         40
        .size:           8
        .value_kind:     global_buffer
      - .actual_access:  read_only
        .address_space:  global
        .offset:         48
        .size:           8
        .value_kind:     global_buffer
      - .offset:         56
        .size:           4
        .value_kind:     by_value
      - .actual_access:  read_only
        .address_space:  global
        .offset:         64
        .size:           8
        .value_kind:     global_buffer
      - .actual_access:  read_only
        .address_space:  global
        .offset:         72
        .size:           8
        .value_kind:     global_buffer
      - .address_space:  global
        .offset:         80
        .size:           8
        .value_kind:     global_buffer
    .group_segment_fixed_size: 0
    .kernarg_segment_align: 8
    .kernarg_segment_size: 88
    .language:       OpenCL C
    .language_version:
      - 2
      - 0
    .max_flat_workgroup_size: 180
    .name:           fft_rtc_fwd_len1800_factors_10_6_10_3_wgs_180_tpt_180_halfLds_dp_ip_CI_unitstride_sbrr_C2R_dirReg
    .private_segment_fixed_size: 0
    .sgpr_count:     34
    .sgpr_spill_count: 0
    .symbol:         fft_rtc_fwd_len1800_factors_10_6_10_3_wgs_180_tpt_180_halfLds_dp_ip_CI_unitstride_sbrr_C2R_dirReg.kd
    .uniform_work_group_size: 1
    .uses_dynamic_stack: false
    .vgpr_count:     111
    .vgpr_spill_count: 0
    .wavefront_size: 32
    .workgroup_processor_mode: 1
amdhsa.target:   amdgcn-amd-amdhsa--gfx1201
amdhsa.version:
  - 1
  - 2
...

	.end_amdgpu_metadata
